;; amdgpu-corpus repo=ROCm/rocFFT kind=compiled arch=gfx906 opt=O3
	.text
	.amdgcn_target "amdgcn-amd-amdhsa--gfx906"
	.amdhsa_code_object_version 6
	.protected	fft_rtc_fwd_len55_factors_5_11_wgs_253_tpt_11_dp_op_CI_CI_sbrr_dirReg ; -- Begin function fft_rtc_fwd_len55_factors_5_11_wgs_253_tpt_11_dp_op_CI_CI_sbrr_dirReg
	.globl	fft_rtc_fwd_len55_factors_5_11_wgs_253_tpt_11_dp_op_CI_CI_sbrr_dirReg
	.p2align	8
	.type	fft_rtc_fwd_len55_factors_5_11_wgs_253_tpt_11_dp_op_CI_CI_sbrr_dirReg,@function
fft_rtc_fwd_len55_factors_5_11_wgs_253_tpt_11_dp_op_CI_CI_sbrr_dirReg: ; @fft_rtc_fwd_len55_factors_5_11_wgs_253_tpt_11_dp_op_CI_CI_sbrr_dirReg
; %bb.0:
	s_load_dwordx4 s[16:19], s[4:5], 0x18
	s_load_dwordx4 s[12:15], s[4:5], 0x0
	;; [unrolled: 1-line block ×3, first 2 shown]
	v_mul_u32_u24_e32 v1, 0x1746, v0
	v_lshrrev_b32_e32 v1, 16, v1
	s_waitcnt lgkmcnt(0)
	s_load_dwordx2 s[20:21], s[16:17], 0x0
	s_load_dwordx2 s[2:3], s[18:19], 0x0
	v_mad_u64_u32 v[20:21], s[0:1], s6, 23, v[1:2]
	v_mov_b32_e32 v1, 0
	v_mov_b32_e32 v4, 0
	;; [unrolled: 1-line block ×3, first 2 shown]
	v_cmp_lt_u64_e64 s[0:1], s[14:15], 2
	v_mov_b32_e32 v5, 0
	v_mov_b32_e32 v45, v5
	;; [unrolled: 1-line block ×3, first 2 shown]
	s_and_b64 vcc, exec, s[0:1]
	v_mov_b32_e32 v44, v4
	v_mov_b32_e32 v46, v20
	s_cbranch_vccnz .LBB0_8
; %bb.1:
	s_load_dwordx2 s[0:1], s[4:5], 0x10
	s_add_u32 s6, s18, 8
	s_addc_u32 s7, s19, 0
	s_add_u32 s22, s16, 8
	v_mov_b32_e32 v4, 0
	s_addc_u32 s23, s17, 0
	v_mov_b32_e32 v5, 0
	s_waitcnt lgkmcnt(0)
	s_add_u32 s24, s0, 8
	v_mov_b32_e32 v45, v5
	v_mov_b32_e32 v6, v20
	s_addc_u32 s25, s1, 0
	s_mov_b64 s[26:27], 1
	v_mov_b32_e32 v44, v4
	v_mov_b32_e32 v7, v21
.LBB0_2:                                ; =>This Inner Loop Header: Depth=1
	s_load_dwordx2 s[28:29], s[24:25], 0x0
                                        ; implicit-def: $vgpr46_vgpr47
	s_waitcnt lgkmcnt(0)
	v_or_b32_e32 v2, s29, v7
	v_cmp_ne_u64_e32 vcc, 0, v[1:2]
	s_and_saveexec_b64 s[0:1], vcc
	s_xor_b64 s[30:31], exec, s[0:1]
	s_cbranch_execz .LBB0_4
; %bb.3:                                ;   in Loop: Header=BB0_2 Depth=1
	v_cvt_f32_u32_e32 v2, s28
	v_cvt_f32_u32_e32 v3, s29
	s_sub_u32 s0, 0, s28
	s_subb_u32 s1, 0, s29
	v_mac_f32_e32 v2, 0x4f800000, v3
	v_rcp_f32_e32 v2, v2
	v_mul_f32_e32 v2, 0x5f7ffffc, v2
	v_mul_f32_e32 v3, 0x2f800000, v2
	v_trunc_f32_e32 v3, v3
	v_mac_f32_e32 v2, 0xcf800000, v3
	v_cvt_u32_f32_e32 v3, v3
	v_cvt_u32_f32_e32 v2, v2
	v_mul_lo_u32 v8, s0, v3
	v_mul_hi_u32 v9, s0, v2
	v_mul_lo_u32 v11, s1, v2
	v_mul_lo_u32 v10, s0, v2
	v_add_u32_e32 v8, v9, v8
	v_add_u32_e32 v8, v8, v11
	v_mul_hi_u32 v9, v2, v10
	v_mul_lo_u32 v11, v2, v8
	v_mul_hi_u32 v13, v2, v8
	v_mul_hi_u32 v12, v3, v10
	v_mul_lo_u32 v10, v3, v10
	v_mul_hi_u32 v14, v3, v8
	v_add_co_u32_e32 v9, vcc, v9, v11
	v_addc_co_u32_e32 v11, vcc, 0, v13, vcc
	v_mul_lo_u32 v8, v3, v8
	v_add_co_u32_e32 v9, vcc, v9, v10
	v_addc_co_u32_e32 v9, vcc, v11, v12, vcc
	v_addc_co_u32_e32 v10, vcc, 0, v14, vcc
	v_add_co_u32_e32 v8, vcc, v9, v8
	v_addc_co_u32_e32 v9, vcc, 0, v10, vcc
	v_add_co_u32_e32 v2, vcc, v2, v8
	v_addc_co_u32_e32 v3, vcc, v3, v9, vcc
	v_mul_lo_u32 v8, s0, v3
	v_mul_hi_u32 v9, s0, v2
	v_mul_lo_u32 v10, s1, v2
	v_mul_lo_u32 v11, s0, v2
	v_add_u32_e32 v8, v9, v8
	v_add_u32_e32 v8, v8, v10
	v_mul_lo_u32 v12, v2, v8
	v_mul_hi_u32 v13, v2, v11
	v_mul_hi_u32 v14, v2, v8
	;; [unrolled: 1-line block ×3, first 2 shown]
	v_mul_lo_u32 v11, v3, v11
	v_mul_hi_u32 v9, v3, v8
	v_add_co_u32_e32 v12, vcc, v13, v12
	v_addc_co_u32_e32 v13, vcc, 0, v14, vcc
	v_mul_lo_u32 v8, v3, v8
	v_add_co_u32_e32 v11, vcc, v12, v11
	v_addc_co_u32_e32 v10, vcc, v13, v10, vcc
	v_addc_co_u32_e32 v9, vcc, 0, v9, vcc
	v_add_co_u32_e32 v8, vcc, v10, v8
	v_addc_co_u32_e32 v9, vcc, 0, v9, vcc
	v_add_co_u32_e32 v8, vcc, v2, v8
	v_addc_co_u32_e32 v9, vcc, v3, v9, vcc
	v_mad_u64_u32 v[2:3], s[0:1], v6, v9, 0
	v_mul_hi_u32 v10, v6, v8
	v_add_co_u32_e32 v10, vcc, v10, v2
	v_addc_co_u32_e32 v11, vcc, 0, v3, vcc
	v_mad_u64_u32 v[2:3], s[0:1], v7, v8, 0
	v_mad_u64_u32 v[8:9], s[0:1], v7, v9, 0
	v_add_co_u32_e32 v2, vcc, v10, v2
	v_addc_co_u32_e32 v2, vcc, v11, v3, vcc
	v_addc_co_u32_e32 v3, vcc, 0, v9, vcc
	v_add_co_u32_e32 v8, vcc, v2, v8
	v_addc_co_u32_e32 v9, vcc, 0, v3, vcc
	v_mul_lo_u32 v10, s29, v8
	v_mul_lo_u32 v11, s28, v9
	v_mad_u64_u32 v[2:3], s[0:1], s28, v8, 0
	v_add3_u32 v3, v3, v11, v10
	v_sub_u32_e32 v10, v7, v3
	v_mov_b32_e32 v11, s29
	v_sub_co_u32_e32 v2, vcc, v6, v2
	v_subb_co_u32_e64 v10, s[0:1], v10, v11, vcc
	v_subrev_co_u32_e64 v11, s[0:1], s28, v2
	v_subbrev_co_u32_e64 v10, s[0:1], 0, v10, s[0:1]
	v_cmp_le_u32_e64 s[0:1], s29, v10
	v_cndmask_b32_e64 v12, 0, -1, s[0:1]
	v_cmp_le_u32_e64 s[0:1], s28, v11
	v_cndmask_b32_e64 v11, 0, -1, s[0:1]
	v_cmp_eq_u32_e64 s[0:1], s29, v10
	v_cndmask_b32_e64 v10, v12, v11, s[0:1]
	v_add_co_u32_e64 v11, s[0:1], 2, v8
	v_addc_co_u32_e64 v12, s[0:1], 0, v9, s[0:1]
	v_add_co_u32_e64 v13, s[0:1], 1, v8
	v_addc_co_u32_e64 v14, s[0:1], 0, v9, s[0:1]
	v_subb_co_u32_e32 v3, vcc, v7, v3, vcc
	v_cmp_ne_u32_e64 s[0:1], 0, v10
	v_cmp_le_u32_e32 vcc, s29, v3
	v_cndmask_b32_e64 v10, v14, v12, s[0:1]
	v_cndmask_b32_e64 v12, 0, -1, vcc
	v_cmp_le_u32_e32 vcc, s28, v2
	v_cndmask_b32_e64 v2, 0, -1, vcc
	v_cmp_eq_u32_e32 vcc, s29, v3
	v_cndmask_b32_e32 v2, v12, v2, vcc
	v_cmp_ne_u32_e32 vcc, 0, v2
	v_cndmask_b32_e64 v2, v13, v11, s[0:1]
	v_cndmask_b32_e32 v47, v9, v10, vcc
	v_cndmask_b32_e32 v46, v8, v2, vcc
.LBB0_4:                                ;   in Loop: Header=BB0_2 Depth=1
	s_andn2_saveexec_b64 s[0:1], s[30:31]
	s_cbranch_execz .LBB0_6
; %bb.5:                                ;   in Loop: Header=BB0_2 Depth=1
	v_cvt_f32_u32_e32 v2, s28
	s_sub_i32 s30, 0, s28
	v_mov_b32_e32 v47, v1
	v_rcp_iflag_f32_e32 v2, v2
	v_mul_f32_e32 v2, 0x4f7ffffe, v2
	v_cvt_u32_f32_e32 v2, v2
	v_mul_lo_u32 v3, s30, v2
	v_mul_hi_u32 v3, v2, v3
	v_add_u32_e32 v2, v2, v3
	v_mul_hi_u32 v2, v6, v2
	v_mul_lo_u32 v3, v2, s28
	v_add_u32_e32 v8, 1, v2
	v_sub_u32_e32 v3, v6, v3
	v_subrev_u32_e32 v9, s28, v3
	v_cmp_le_u32_e32 vcc, s28, v3
	v_cndmask_b32_e32 v3, v3, v9, vcc
	v_cndmask_b32_e32 v2, v2, v8, vcc
	v_add_u32_e32 v8, 1, v2
	v_cmp_le_u32_e32 vcc, s28, v3
	v_cndmask_b32_e32 v46, v2, v8, vcc
.LBB0_6:                                ;   in Loop: Header=BB0_2 Depth=1
	s_or_b64 exec, exec, s[0:1]
	v_mul_lo_u32 v8, v47, s28
	v_mul_lo_u32 v9, v46, s29
	v_mad_u64_u32 v[2:3], s[0:1], v46, s28, 0
	s_load_dwordx2 s[0:1], s[22:23], 0x0
	s_load_dwordx2 s[28:29], s[6:7], 0x0
	v_add3_u32 v3, v3, v9, v8
	v_sub_co_u32_e32 v2, vcc, v6, v2
	v_subb_co_u32_e32 v3, vcc, v7, v3, vcc
	s_waitcnt lgkmcnt(0)
	v_mul_lo_u32 v6, s0, v3
	v_mul_lo_u32 v7, s1, v2
	v_mad_u64_u32 v[4:5], s[0:1], s0, v2, v[4:5]
	v_mul_lo_u32 v3, s28, v3
	v_mul_lo_u32 v8, s29, v2
	v_mad_u64_u32 v[44:45], s[0:1], s28, v2, v[44:45]
	s_add_u32 s26, s26, 1
	s_addc_u32 s27, s27, 0
	s_add_u32 s6, s6, 8
	v_add3_u32 v45, v8, v45, v3
	s_addc_u32 s7, s7, 0
	v_mov_b32_e32 v2, s14
	s_add_u32 s22, s22, 8
	v_mov_b32_e32 v3, s15
	s_addc_u32 s23, s23, 0
	v_cmp_ge_u64_e32 vcc, s[26:27], v[2:3]
	s_add_u32 s24, s24, 8
	v_add3_u32 v5, v7, v5, v6
	s_addc_u32 s25, s25, 0
	s_cbranch_vccnz .LBB0_8
; %bb.7:                                ;   in Loop: Header=BB0_2 Depth=1
	v_mov_b32_e32 v6, v46
	v_mov_b32_e32 v7, v47
	s_branch .LBB0_2
.LBB0_8:
	s_load_dwordx2 s[0:1], s[4:5], 0x28
	s_lshl_b64 s[14:15], s[14:15], 3
	s_add_u32 s4, s18, s14
	s_addc_u32 s5, s19, s15
                                        ; implicit-def: $vgpr100
	s_waitcnt lgkmcnt(0)
	v_cmp_gt_u64_e32 vcc, s[0:1], v[46:47]
	v_cmp_le_u64_e64 s[0:1], s[0:1], v[46:47]
	s_and_saveexec_b64 s[6:7], s[0:1]
	s_xor_b64 s[0:1], exec, s[6:7]
; %bb.9:
	s_mov_b32 s6, 0x1745d175
	v_mul_hi_u32 v1, v0, s6
                                        ; implicit-def: $vgpr4_vgpr5
	v_mul_u32_u24_e32 v1, 11, v1
	v_sub_u32_e32 v100, v0, v1
                                        ; implicit-def: $vgpr0
; %bb.10:
	s_or_saveexec_b64 s[6:7], s[0:1]
                                        ; implicit-def: $vgpr2_vgpr3
                                        ; implicit-def: $vgpr10_vgpr11
                                        ; implicit-def: $vgpr18_vgpr19
                                        ; implicit-def: $vgpr14_vgpr15
                                        ; implicit-def: $vgpr6_vgpr7
	s_xor_b64 exec, exec, s[6:7]
	s_cbranch_execz .LBB0_12
; %bb.11:
	s_add_u32 s0, s16, s14
	s_mov_b32 s14, 0x1745d175
	s_addc_u32 s1, s17, s15
	v_mul_hi_u32 v1, v0, s14
	s_load_dwordx2 s[0:1], s[0:1], 0x0
	v_mul_u32_u24_e32 v1, 11, v1
	v_sub_u32_e32 v100, v0, v1
	s_waitcnt lgkmcnt(0)
	v_mul_lo_u32 v8, s1, v46
	v_mad_u64_u32 v[0:1], s[14:15], s20, v100, 0
	v_mul_lo_u32 v9, s0, v47
	v_mad_u64_u32 v[2:3], s[0:1], s0, v46, 0
	v_add_u32_e32 v10, 33, v100
	v_mad_u64_u32 v[6:7], s[0:1], s21, v100, v[1:2]
	v_add3_u32 v3, v3, v9, v8
	v_lshlrev_b64 v[2:3], 4, v[2:3]
	v_mov_b32_e32 v1, v6
	v_mov_b32_e32 v6, s9
	v_add_co_u32_e64 v7, s[0:1], s8, v2
	v_add_u32_e32 v8, 11, v100
	v_addc_co_u32_e64 v6, s[0:1], v6, v3, s[0:1]
	v_lshlrev_b64 v[2:3], 4, v[4:5]
	v_mad_u64_u32 v[4:5], s[0:1], s20, v8, 0
	v_add_co_u32_e64 v16, s[0:1], v7, v2
	v_mov_b32_e32 v2, v5
	v_addc_co_u32_e64 v17, s[0:1], v6, v3, s[0:1]
	v_mad_u64_u32 v[2:3], s[0:1], s21, v8, v[2:3]
	v_add_u32_e32 v8, 22, v100
	v_mad_u64_u32 v[6:7], s[0:1], s20, v8, 0
	v_lshlrev_b64 v[0:1], 4, v[0:1]
	v_mov_b32_e32 v5, v2
	v_add_co_u32_e64 v0, s[0:1], v16, v0
	v_lshlrev_b64 v[2:3], 4, v[4:5]
	v_mov_b32_e32 v4, v7
	v_addc_co_u32_e64 v1, s[0:1], v17, v1, s[0:1]
	v_mad_u64_u32 v[4:5], s[0:1], s21, v8, v[4:5]
	v_mad_u64_u32 v[8:9], s[0:1], s20, v10, 0
	v_mov_b32_e32 v7, v4
	v_add_co_u32_e64 v2, s[0:1], v16, v2
	v_lshlrev_b64 v[4:5], 4, v[6:7]
	v_mov_b32_e32 v6, v9
	v_addc_co_u32_e64 v3, s[0:1], v17, v3, s[0:1]
	v_mad_u64_u32 v[6:7], s[0:1], s21, v10, v[6:7]
	v_add_u32_e32 v7, 44, v100
	v_mad_u64_u32 v[10:11], s[0:1], s20, v7, 0
	v_add_co_u32_e64 v21, s[0:1], v16, v4
	v_mov_b32_e32 v9, v6
	v_mov_b32_e32 v6, v11
	v_addc_co_u32_e64 v22, s[0:1], v17, v5, s[0:1]
	v_mad_u64_u32 v[6:7], s[0:1], s21, v7, v[6:7]
	v_lshlrev_b64 v[4:5], 4, v[8:9]
	v_add_co_u32_e64 v23, s[0:1], v16, v4
	v_mov_b32_e32 v11, v6
	v_addc_co_u32_e64 v24, s[0:1], v17, v5, s[0:1]
	global_load_dwordx4 v[4:7], v[0:1], off
	global_load_dwordx4 v[12:15], v[2:3], off
	v_lshlrev_b64 v[0:1], 4, v[10:11]
	v_add_co_u32_e64 v25, s[0:1], v16, v0
	v_addc_co_u32_e64 v26, s[0:1], v17, v1, s[0:1]
	global_load_dwordx4 v[16:19], v[21:22], off
	global_load_dwordx4 v[8:11], v[23:24], off
	;; [unrolled: 1-line block ×3, first 2 shown]
.LBB0_12:
	s_or_b64 exec, exec, s[6:7]
	s_waitcnt vmcnt(3)
	v_add_f64 v[21:22], v[12:13], v[4:5]
	v_add_f64 v[23:24], v[14:15], v[6:7]
	s_waitcnt vmcnt(1)
	v_add_f64 v[25:26], v[8:9], v[16:17]
	v_add_f64 v[29:30], v[12:13], -v[16:17]
	v_add_f64 v[31:32], v[16:17], -v[12:13]
	v_add_f64 v[33:34], v[10:11], v[18:19]
	v_add_f64 v[35:36], v[16:17], -v[8:9]
	s_waitcnt vmcnt(0)
	v_add_f64 v[39:40], v[0:1], v[12:13]
	v_add_f64 v[16:17], v[16:17], v[21:22]
	;; [unrolled: 1-line block ×3, first 2 shown]
	v_add_f64 v[12:13], v[12:13], -v[0:1]
	s_mov_b32 s0, 0x134454ff
	s_mov_b32 s1, 0x3fee6f0e
	v_fma_f64 v[33:34], v[33:34], -0.5, v[6:7]
	s_mov_b32 s7, 0xbfee6f0e
	s_mov_b32 s6, s0
	v_add_f64 v[27:28], v[18:19], -v[10:11]
	v_add_f64 v[21:22], v[10:11], v[21:22]
	v_add_f64 v[23:24], v[14:15], -v[18:19]
	v_add_f64 v[18:19], v[18:19], -v[14:15]
	;; [unrolled: 1-line block ×3, first 2 shown]
	v_add_f64 v[14:15], v[2:3], v[14:15]
	v_add_f64 v[16:17], v[8:9], v[16:17]
	v_add_f64 v[48:49], v[2:3], -v[10:11]
	v_fma_f64 v[25:26], v[25:26], -0.5, v[4:5]
	v_add_f64 v[10:11], v[10:11], -v[2:3]
	v_add_f64 v[2:3], v[2:3], v[21:22]
	v_fma_f64 v[21:22], v[12:13], s[6:7], v[33:34]
	s_mov_b32 s8, 0x4755a5e
	s_mov_b32 s9, 0x3fe2cf23
	;; [unrolled: 1-line block ×4, first 2 shown]
	v_add_f64 v[41:42], v[0:1], -v[8:9]
	v_add_f64 v[8:9], v[8:9], -v[0:1]
	v_add_f64 v[0:1], v[0:1], v[16:17]
	v_fma_f64 v[16:17], v[39:40], -0.5, v[4:5]
	v_fma_f64 v[4:5], v[37:38], s[0:1], v[25:26]
	v_add_f64 v[23:24], v[48:49], v[23:24]
	v_fma_f64 v[21:22], v[35:36], s[14:15], v[21:22]
	v_fma_f64 v[14:15], v[14:15], -0.5, v[6:7]
	v_fma_f64 v[25:26], v[37:38], s[6:7], v[25:26]
	s_mov_b32 s16, 0x372fe950
	s_mov_b32 s17, 0x3fd3c6ef
	v_fma_f64 v[33:34], v[12:13], s[0:1], v[33:34]
	v_fma_f64 v[4:5], v[27:28], s[8:9], v[4:5]
	;; [unrolled: 1-line block ×8, first 2 shown]
	v_add_f64 v[29:30], v[41:42], v[29:30]
	v_fma_f64 v[33:34], v[35:36], s[8:9], v[33:34]
	v_add_f64 v[31:32], v[8:9], v[31:32]
	v_fma_f64 v[8:9], v[37:38], s[8:9], v[39:40]
	;; [unrolled: 2-line block ×3, first 2 shown]
	v_fma_f64 v[21:22], v[37:38], s[14:15], v[27:28]
	v_fma_f64 v[14:15], v[12:13], s[8:9], v[14:15]
	s_mov_b32 s0, 0xb21642c9
	v_mul_hi_u32 v12, v20, s0
	v_fma_f64 v[4:5], v[29:30], s[16:17], v[4:5]
	v_fma_f64 v[16:17], v[29:30], s[16:17], v[25:26]
	;; [unrolled: 1-line block ×3, first 2 shown]
	v_lshrrev_b32_e32 v12, 4, v12
	v_fma_f64 v[8:9], v[31:32], s[16:17], v[8:9]
	v_fma_f64 v[10:11], v[35:36], s[16:17], v[10:11]
	v_mul_lo_u32 v23, v12, 23
	v_fma_f64 v[12:13], v[31:32], s[16:17], v[21:22]
	v_fma_f64 v[14:15], v[35:36], s[16:17], v[14:15]
	s_load_dwordx2 s[4:5], s[4:5], 0x0
	v_sub_u32_e32 v20, v20, v23
	s_movk_i32 s0, 0x50
	v_mul_u32_u24_e32 v21, 55, v20
	v_mad_u32_u24 v20, v100, s0, 0
	v_lshl_add_u32 v22, v21, 4, v20
	v_cmp_gt_u32_e64 s[0:1], 5, v100
	ds_write_b128 v22, v[0:3]
	ds_write_b128 v22, v[4:7] offset:16
	ds_write_b128 v22, v[8:11] offset:32
	;; [unrolled: 1-line block ×4, first 2 shown]
	s_waitcnt lgkmcnt(0)
	s_barrier
	s_waitcnt lgkmcnt(0)
                                        ; implicit-def: $vgpr42_vgpr43
                                        ; implicit-def: $vgpr38_vgpr39
                                        ; implicit-def: $vgpr30_vgpr31
                                        ; implicit-def: $vgpr34_vgpr35
                                        ; implicit-def: $vgpr26_vgpr27
                                        ; implicit-def: $vgpr22_vgpr23
	s_and_saveexec_b64 s[6:7], s[0:1]
	s_cbranch_execz .LBB0_14
; %bb.13:
	v_lshlrev_b32_e32 v2, 6, v100
	v_lshlrev_b32_e32 v0, 4, v21
	;; [unrolled: 1-line block ×3, first 2 shown]
	v_sub_u32_e32 v2, v20, v2
	v_add3_u32 v1, 0, v0, v1
	v_add_u32_e32 v40, v2, v0
	ds_read_b128 v[0:3], v1
	ds_read_b128 v[4:7], v40 offset:80
	ds_read_b128 v[8:11], v40 offset:160
	ds_read_b128 v[12:15], v40 offset:240
	ds_read_b128 v[16:19], v40 offset:320
	ds_read_b128 v[20:23], v40 offset:400
	ds_read_b128 v[24:27], v40 offset:480
	ds_read_b128 v[32:35], v40 offset:560
	ds_read_b128 v[28:31], v40 offset:640
	ds_read_b128 v[36:39], v40 offset:720
	ds_read_b128 v[40:43], v40 offset:800
.LBB0_14:
	s_or_b64 exec, exec, s[6:7]
	v_cmp_gt_u32_e64 s[0:1], 5, v100
	s_and_b64 s[0:1], vcc, s[0:1]
	s_and_saveexec_b64 s[6:7], s[0:1]
	s_cbranch_execz .LBB0_16
; %bb.15:
	s_movk_i32 s0, 0xcd
	v_mul_lo_u16_sdwa v48, v100, s0 dst_sel:DWORD dst_unused:UNUSED_PAD src0_sel:BYTE_0 src1_sel:DWORD
	v_lshrrev_b16_e32 v48, 10, v48
	v_mul_lo_u16_e32 v48, 5, v48
	v_sub_u16_e32 v48, v100, v48
	v_mul_lo_u16_e32 v48, 10, v48
	v_and_b32_e32 v48, 0xfe, v48
	v_lshlrev_b32_e32 v68, 4, v48
	global_load_dwordx4 v[48:51], v68, s[12:13] offset:64
	global_load_dwordx4 v[52:55], v68, s[12:13] offset:80
	global_load_dwordx4 v[56:59], v68, s[12:13] offset:48
	global_load_dwordx4 v[60:63], v68, s[12:13] offset:96
	global_load_dwordx4 v[64:67], v68, s[12:13] offset:32
	global_load_dwordx4 v[70:73], v68, s[12:13] offset:112
	global_load_dwordx4 v[74:77], v68, s[12:13] offset:16
	global_load_dwordx4 v[78:81], v68, s[12:13]
	global_load_dwordx4 v[82:85], v68, s[12:13] offset:144
	global_load_dwordx4 v[90:93], v68, s[12:13] offset:128
	s_mov_b32 s0, 0x9bcd5057
	s_mov_b32 s6, 0xfd768dbf
	s_mov_b32 s1, 0xbfeeb42a
	s_mov_b32 s7, 0x3fd207e7
	s_mov_b32 s15, 0xbfd207e7
	s_mov_b32 s14, s6
	s_mov_b32 s8, 0x8764f0ba
	s_mov_b32 s12, 0xf8bb580b
	s_mov_b32 s9, 0x3feaeb8c
	s_mov_b32 s13, 0xbfe14ced
	s_mov_b32 s17, 0x3fe14ced
	s_mov_b32 s16, s12
	s_mov_b32 s18, 0x7f775887
	s_mov_b32 s22, 0xbb3a28a1
	s_mov_b32 s19, 0xbfe4f49e
	s_mov_b32 s23, 0x3fe82f19
	s_mov_b32 s21, 0xbfe82f19
	s_mov_b32 s20, s22
	s_mov_b32 s24, 0xd9c712b6
	s_mov_b32 s28, 0x8eee2c13
	s_mov_b32 s25, 0x3fda9628
	s_mov_b32 s29, 0xbfed1bb4
	s_mov_b32 s37, 0x3fed1bb4
	s_mov_b32 s36, s28
	s_mov_b32 s26, 0x640f44db
	s_mov_b32 s34, 0x43842ef
	s_mov_b32 s27, 0xbfc2375f
	s_mov_b32 s35, 0x3fefac9e
	s_mov_b32 s31, 0xbfefac9e
	s_mov_b32 s30, s34
	s_waitcnt vmcnt(9) lgkmcnt(5)
	v_mul_f64 v[68:69], v[22:23], v[48:49]
	v_mul_f64 v[22:23], v[22:23], v[50:51]
	s_waitcnt vmcnt(7)
	v_mul_f64 v[88:89], v[18:19], v[56:57]
	v_mul_f64 v[18:19], v[18:19], v[58:59]
	s_waitcnt lgkmcnt(4)
	v_mul_f64 v[86:87], v[26:27], v[52:53]
	v_mul_f64 v[26:27], v[26:27], v[54:55]
	s_waitcnt vmcnt(6) lgkmcnt(3)
	v_mul_f64 v[96:97], v[34:35], v[62:63]
	s_waitcnt vmcnt(2)
	v_mul_f64 v[107:108], v[6:7], v[78:79]
	s_waitcnt vmcnt(1) lgkmcnt(0)
	v_mul_f64 v[109:110], v[42:43], v[82:83]
	v_mul_f64 v[98:99], v[14:15], v[64:65]
	;; [unrolled: 1-line block ×5, first 2 shown]
	s_waitcnt vmcnt(0)
	v_mul_f64 v[113:114], v[38:39], v[90:91]
	v_mul_f64 v[115:116], v[38:39], v[92:93]
	v_fma_f64 v[42:43], v[20:21], v[50:51], v[68:69]
	v_fma_f64 v[38:39], v[20:21], v[48:49], -v[22:23]
	v_fma_f64 v[50:51], v[16:17], v[58:59], v[88:89]
	v_fma_f64 v[48:49], v[16:17], v[56:57], -v[18:19]
	v_fma_f64 v[88:89], v[4:5], v[80:81], v[107:108]
	v_fma_f64 v[16:17], v[40:41], v[84:85], v[109:110]
	v_mul_f64 v[94:95], v[34:35], v[60:61]
	v_mul_f64 v[14:15], v[14:15], v[66:67]
	;; [unrolled: 1-line block ×5, first 2 shown]
	v_fma_f64 v[34:35], v[24:25], v[54:55], v[86:87]
	v_fma_f64 v[30:31], v[24:25], v[52:53], -v[26:27]
	v_fma_f64 v[24:25], v[32:33], v[60:61], -v[96:97]
	v_fma_f64 v[76:77], v[8:9], v[76:77], v[105:106]
	v_fma_f64 v[80:81], v[4:5], v[78:79], -v[6:7]
	v_fma_f64 v[18:19], v[40:41], v[82:83], -v[111:112]
	v_fma_f64 v[22:23], v[36:37], v[92:93], v[113:114]
	v_fma_f64 v[66:67], v[12:13], v[66:67], v[98:99]
	v_add_f64 v[98:99], v[88:89], v[16:17]
	v_add_f64 v[96:97], v[88:89], -v[16:17]
	v_fma_f64 v[26:27], v[32:33], v[62:63], v[94:95]
	v_fma_f64 v[68:69], v[8:9], v[74:75], -v[10:11]
	v_fma_f64 v[20:21], v[36:37], v[90:91], -v[115:116]
	v_fma_f64 v[32:33], v[28:29], v[72:73], v[101:102]
	v_add_f64 v[74:75], v[80:81], -v[18:19]
	v_add_f64 v[94:95], v[76:77], v[22:23]
	v_add_f64 v[78:79], v[80:81], v[18:19]
	v_add_f64 v[92:93], v[76:77], -v[22:23]
	v_mul_f64 v[4:5], v[98:99], s[0:1]
	v_mul_f64 v[6:7], v[96:97], s[14:15]
	v_fma_f64 v[62:63], v[12:13], v[64:65], -v[14:15]
	v_fma_f64 v[28:29], v[28:29], v[70:71], -v[103:104]
	v_add_f64 v[70:71], v[68:69], -v[20:21]
	v_add_f64 v[64:65], v[68:69], v[20:21]
	v_add_f64 v[90:91], v[66:67], v[32:33]
	v_add_f64 v[86:87], v[66:67], -v[32:33]
	v_mul_f64 v[8:9], v[94:95], s[8:9]
	v_mul_f64 v[10:11], v[92:93], s[16:17]
	v_fma_f64 v[113:114], v[74:75], s[6:7], v[4:5]
	v_fma_f64 v[115:116], v[78:79], s[0:1], v[6:7]
	;; [unrolled: 1-line block ×3, first 2 shown]
	v_add_f64 v[58:59], v[62:63], -v[28:29]
	v_add_f64 v[56:57], v[62:63], v[28:29]
	v_add_f64 v[82:83], v[50:51], v[26:27]
	v_add_f64 v[84:85], v[50:51], -v[26:27]
	v_mul_f64 v[12:13], v[90:91], s[18:19]
	v_mul_f64 v[14:15], v[86:87], s[20:21]
	v_fma_f64 v[119:120], v[70:71], s[12:13], v[8:9]
	v_fma_f64 v[6:7], v[78:79], s[0:1], -v[6:7]
	v_fma_f64 v[121:122], v[64:65], s[8:9], v[10:11]
	v_fma_f64 v[8:9], v[70:71], s[16:17], v[8:9]
	v_add_f64 v[113:114], v[2:3], v[113:114]
	v_add_f64 v[115:116], v[0:1], v[115:116]
	;; [unrolled: 1-line block ×3, first 2 shown]
	v_add_f64 v[52:53], v[48:49], -v[24:25]
	v_add_f64 v[40:41], v[48:49], v[24:25]
	v_add_f64 v[60:61], v[42:43], v[34:35]
	v_add_f64 v[72:73], v[42:43], -v[34:35]
	v_mul_f64 v[101:102], v[82:83], s[24:25]
	v_mul_f64 v[103:104], v[84:85], s[36:37]
	;; [unrolled: 1-line block ×3, first 2 shown]
	v_fma_f64 v[10:11], v[64:65], s[8:9], -v[10:11]
	v_fma_f64 v[123:124], v[58:59], s[22:23], v[12:13]
	v_fma_f64 v[125:126], v[56:57], s[18:19], v[14:15]
	;; [unrolled: 1-line block ×3, first 2 shown]
	v_add_f64 v[6:7], v[0:1], v[6:7]
	v_add_f64 v[113:114], v[119:120], v[113:114]
	;; [unrolled: 1-line block ×4, first 2 shown]
	v_add_f64 v[36:37], v[38:39], -v[30:31]
	v_add_f64 v[54:55], v[38:39], v[30:31]
	v_mul_f64 v[105:106], v[60:61], s[26:27]
	v_mul_f64 v[107:108], v[72:73], s[30:31]
	;; [unrolled: 1-line block ×4, first 2 shown]
	v_fma_f64 v[14:15], v[56:57], s[18:19], -v[14:15]
	v_fma_f64 v[119:120], v[52:53], s[28:29], v[101:102]
	v_fma_f64 v[8:9], v[40:41], s[24:25], v[103:104]
	;; [unrolled: 1-line block ×3, first 2 shown]
	v_add_f64 v[6:7], v[10:11], v[6:7]
	v_add_f64 v[10:11], v[123:124], v[113:114]
	;; [unrolled: 1-line block ×3, first 2 shown]
	v_fma_f64 v[115:116], v[74:75], s[22:23], v[109:110]
	v_add_f64 v[4:5], v[12:13], v[4:5]
	v_fma_f64 v[121:122], v[36:37], s[34:35], v[105:106]
	v_fma_f64 v[12:13], v[54:55], s[26:27], v[107:108]
	v_fma_f64 v[103:104], v[40:41], s[24:25], -v[103:104]
	v_add_f64 v[6:7], v[14:15], v[6:7]
	v_add_f64 v[10:11], v[119:120], v[10:11]
	;; [unrolled: 1-line block ×3, first 2 shown]
	v_fma_f64 v[14:15], v[70:71], s[30:31], v[111:112]
	v_add_f64 v[113:114], v[2:3], v[115:116]
	v_add_f64 v[101:102], v[101:102], v[4:5]
	v_fma_f64 v[115:116], v[78:79], s[18:19], v[117:118]
	v_mul_f64 v[119:120], v[92:93], s[34:35]
	v_mul_f64 v[123:124], v[90:91], s[8:9]
	v_fma_f64 v[105:106], v[36:37], s[30:31], v[105:106]
	v_fma_f64 v[109:110], v[74:75], s[20:21], v[109:110]
	v_add_f64 v[103:104], v[103:104], v[6:7]
	v_add_f64 v[6:7], v[121:122], v[10:11]
	;; [unrolled: 1-line block ×3, first 2 shown]
	v_fma_f64 v[8:9], v[54:55], s[26:27], -v[107:108]
	v_add_f64 v[12:13], v[0:1], v[115:116]
	v_fma_f64 v[107:108], v[64:65], s[26:27], v[119:120]
	v_mul_f64 v[115:116], v[86:87], s[12:13]
	v_add_f64 v[14:15], v[14:15], v[113:114]
	v_fma_f64 v[113:114], v[58:59], s[16:17], v[123:124]
	v_mul_f64 v[121:122], v[82:83], s[0:1]
	v_add_f64 v[10:11], v[105:106], v[101:102]
	v_fma_f64 v[101:102], v[78:79], s[18:19], -v[117:118]
	v_fma_f64 v[111:112], v[70:71], s[34:35], v[111:112]
	v_add_f64 v[109:110], v[2:3], v[109:110]
	v_add_f64 v[12:13], v[107:108], v[12:13]
	v_fma_f64 v[105:106], v[56:57], s[8:9], v[115:116]
	v_mul_f64 v[107:108], v[84:85], s[14:15]
	v_add_f64 v[8:9], v[8:9], v[103:104]
	v_fma_f64 v[103:104], v[64:65], s[26:27], -v[119:120]
	v_add_f64 v[101:102], v[0:1], v[101:102]
	v_add_f64 v[14:15], v[113:114], v[14:15]
	v_fma_f64 v[113:114], v[52:53], s[6:7], v[121:122]
	v_add_f64 v[109:110], v[111:112], v[109:110]
	v_fma_f64 v[111:112], v[58:59], s[12:13], v[123:124]
	;; [unrolled: 2-line block ×3, first 2 shown]
	v_mul_f64 v[117:118], v[60:61], s[24:25]
	v_add_f64 v[101:102], v[103:104], v[101:102]
	v_fma_f64 v[103:104], v[56:57], s[8:9], -v[115:116]
	v_add_f64 v[14:15], v[113:114], v[14:15]
	v_mul_f64 v[113:114], v[98:99], s[26:27]
	v_add_f64 v[109:110], v[111:112], v[109:110]
	v_mul_f64 v[111:112], v[96:97], s[30:31]
	;; [unrolled: 2-line block ×3, first 2 shown]
	v_fma_f64 v[115:116], v[36:37], s[28:29], v[117:118]
	v_add_f64 v[101:102], v[103:104], v[101:102]
	v_fma_f64 v[103:104], v[52:53], s[14:15], v[121:122]
	v_fma_f64 v[119:120], v[74:75], s[34:35], v[113:114]
	v_mul_f64 v[121:122], v[94:95], s[0:1]
	v_fma_f64 v[107:108], v[40:41], s[0:1], -v[107:108]
	v_fma_f64 v[125:126], v[78:79], s[26:27], v[111:112]
	v_mul_f64 v[127:128], v[92:93], s[6:7]
	v_fma_f64 v[123:124], v[54:55], s[24:25], v[105:106]
	v_add_f64 v[14:15], v[115:116], v[14:15]
	v_add_f64 v[103:104], v[103:104], v[109:110]
	;; [unrolled: 1-line block ×3, first 2 shown]
	v_fma_f64 v[115:116], v[70:71], s[14:15], v[121:122]
	v_mul_f64 v[119:120], v[90:91], s[24:25]
	v_add_f64 v[101:102], v[107:108], v[101:102]
	v_add_f64 v[107:108], v[0:1], v[125:126]
	v_fma_f64 v[125:126], v[64:65], s[0:1], v[127:128]
	v_mul_f64 v[129:130], v[86:87], s[36:37]
	v_fma_f64 v[105:106], v[54:55], s[24:25], -v[105:106]
	v_add_f64 v[12:13], v[123:124], v[12:13]
	v_add_f64 v[109:110], v[115:116], v[109:110]
	v_fma_f64 v[115:116], v[58:59], s[28:29], v[119:120]
	v_mul_f64 v[123:124], v[82:83], s[8:9]
	v_mul_f64 v[131:132], v[84:85], s[12:13]
	v_add_f64 v[107:108], v[125:126], v[107:108]
	v_fma_f64 v[125:126], v[56:57], s[24:25], v[129:130]
	v_fma_f64 v[117:118], v[36:37], s[36:37], v[117:118]
	v_add_f64 v[101:102], v[105:106], v[101:102]
	v_fma_f64 v[111:112], v[78:79], s[26:27], -v[111:112]
	v_add_f64 v[105:106], v[115:116], v[109:110]
	v_fma_f64 v[109:110], v[74:75], s[30:31], v[113:114]
	v_fma_f64 v[113:114], v[52:53], s[16:17], v[123:124]
	;; [unrolled: 1-line block ×3, first 2 shown]
	v_add_f64 v[107:108], v[125:126], v[107:108]
	v_add_f64 v[103:104], v[117:118], v[103:104]
	v_mul_f64 v[117:118], v[60:61], s[18:19]
	v_mul_f64 v[125:126], v[72:73], s[20:21]
	v_fma_f64 v[121:122], v[70:71], s[6:7], v[121:122]
	v_add_f64 v[109:110], v[2:3], v[109:110]
	v_fma_f64 v[127:128], v[64:65], s[0:1], -v[127:128]
	v_add_f64 v[111:112], v[0:1], v[111:112]
	v_add_f64 v[105:106], v[113:114], v[105:106]
	;; [unrolled: 1-line block ×3, first 2 shown]
	v_mul_f64 v[115:116], v[98:99], s[24:25]
	v_fma_f64 v[107:108], v[36:37], s[22:23], v[117:118]
	v_fma_f64 v[133:134], v[54:55], s[18:19], v[125:126]
	v_add_f64 v[109:110], v[121:122], v[109:110]
	v_fma_f64 v[119:120], v[58:59], s[36:37], v[119:120]
	v_add_f64 v[111:112], v[127:128], v[111:112]
	v_fma_f64 v[121:122], v[56:57], s[24:25], -v[129:130]
	v_mul_f64 v[135:136], v[94:95], s[18:19]
	v_fma_f64 v[129:130], v[74:75], s[36:37], v[115:116]
	v_mul_f64 v[127:128], v[96:97], s[28:29]
	v_add_f64 v[107:108], v[107:108], v[105:106]
	v_add_f64 v[105:106], v[133:134], v[113:114]
	;; [unrolled: 1-line block ×3, first 2 shown]
	v_fma_f64 v[113:114], v[52:53], s[12:13], v[123:124]
	v_add_f64 v[111:112], v[121:122], v[111:112]
	v_mul_f64 v[133:134], v[90:91], s[0:1]
	v_add_f64 v[123:124], v[2:3], v[129:130]
	v_fma_f64 v[129:130], v[70:71], s[22:23], v[135:136]
	v_fma_f64 v[131:132], v[40:41], s[8:9], -v[131:132]
	v_fma_f64 v[119:120], v[78:79], s[24:25], v[127:128]
	v_mul_f64 v[121:122], v[92:93], s[20:21]
	v_add_f64 v[109:110], v[113:114], v[109:110]
	v_fma_f64 v[113:114], v[36:37], s[20:21], v[117:118]
	v_mul_f64 v[139:140], v[82:83], s[26:27]
	v_fma_f64 v[125:126], v[54:55], s[18:19], -v[125:126]
	v_add_f64 v[123:124], v[129:130], v[123:124]
	v_fma_f64 v[129:130], v[58:59], s[14:15], v[133:134]
	v_add_f64 v[131:132], v[131:132], v[111:112]
	v_add_f64 v[88:89], v[2:3], v[88:89]
	v_fma_f64 v[115:116], v[74:75], s[28:29], v[115:116]
	v_add_f64 v[117:118], v[0:1], v[119:120]
	v_fma_f64 v[119:120], v[64:65], s[18:19], v[121:122]
	v_mul_f64 v[137:138], v[86:87], s[6:7]
	v_add_f64 v[111:112], v[113:114], v[109:110]
	v_add_f64 v[123:124], v[129:130], v[123:124]
	v_fma_f64 v[129:130], v[52:53], s[30:31], v[139:140]
	v_mul_f64 v[141:142], v[60:61], s[8:9]
	v_add_f64 v[109:110], v[125:126], v[131:132]
	v_fma_f64 v[125:126], v[78:79], s[24:25], -v[127:128]
	v_add_f64 v[80:81], v[0:1], v[80:81]
	v_add_f64 v[76:77], v[76:77], v[88:89]
	v_fma_f64 v[127:128], v[70:71], s[20:21], v[135:136]
	v_add_f64 v[115:116], v[2:3], v[115:116]
	v_add_f64 v[113:114], v[119:120], v[117:118]
	v_fma_f64 v[117:118], v[56:57], s[0:1], v[137:138]
	v_mul_f64 v[119:120], v[84:85], s[34:35]
	v_add_f64 v[123:124], v[129:130], v[123:124]
	v_fma_f64 v[129:130], v[36:37], s[12:13], v[141:142]
	v_fma_f64 v[121:122], v[64:65], s[18:19], -v[121:122]
	v_add_f64 v[125:126], v[0:1], v[125:126]
	v_mul_f64 v[98:99], v[98:99], s[8:9]
	v_add_f64 v[68:69], v[68:69], v[80:81]
	v_add_f64 v[66:67], v[66:67], v[76:77]
	v_add_f64 v[115:116], v[127:128], v[115:116]
	v_mul_f64 v[127:128], v[96:97], s[12:13]
	v_add_f64 v[113:114], v[117:118], v[113:114]
	v_fma_f64 v[117:118], v[40:41], s[26:27], v[119:120]
	v_add_f64 v[96:97], v[129:130], v[123:124]
	v_add_f64 v[121:122], v[121:122], v[125:126]
	v_fma_f64 v[123:124], v[74:75], s[16:17], v[98:99]
	v_mul_f64 v[125:126], v[94:95], s[24:25]
	v_add_f64 v[62:63], v[62:63], v[68:69]
	v_add_f64 v[50:51], v[50:51], v[66:67]
	v_fma_f64 v[131:132], v[58:59], s[6:7], v[133:134]
	v_fma_f64 v[133:134], v[78:79], s[8:9], v[127:128]
	v_mul_f64 v[92:93], v[92:93], s[28:29]
	v_fma_f64 v[74:75], v[74:75], s[12:13], v[98:99]
	v_fma_f64 v[78:79], v[78:79], s[8:9], -v[127:128]
	v_add_f64 v[113:114], v[117:118], v[113:114]
	v_mul_f64 v[117:118], v[72:73], s[16:17]
	v_add_f64 v[123:124], v[2:3], v[123:124]
	v_fma_f64 v[135:136], v[70:71], s[36:37], v[125:126]
	v_mul_f64 v[90:91], v[90:91], s[26:27]
	v_add_f64 v[48:49], v[48:49], v[62:63]
	v_add_f64 v[42:43], v[42:43], v[50:51]
	;; [unrolled: 1-line block ×3, first 2 shown]
	v_mul_f64 v[86:87], v[86:87], s[30:31]
	v_fma_f64 v[68:69], v[70:71], s[28:29], v[125:126]
	v_add_f64 v[2:3], v[2:3], v[74:75]
	v_add_f64 v[0:1], v[0:1], v[78:79]
	v_fma_f64 v[62:63], v[64:65], s[24:25], -v[92:93]
	v_fma_f64 v[94:95], v[56:57], s[0:1], -v[137:138]
	v_fma_f64 v[129:130], v[54:55], s[8:9], v[117:118]
	v_add_f64 v[123:124], v[135:136], v[123:124]
	v_fma_f64 v[135:136], v[58:59], s[34:35], v[90:91]
	v_mul_f64 v[82:83], v[82:83], s[18:19]
	v_add_f64 v[38:39], v[38:39], v[48:49]
	v_add_f64 v[34:35], v[34:35], v[42:43]
	v_fma_f64 v[137:138], v[64:65], s[24:25], v[92:93]
	v_mul_f64 v[76:77], v[84:85], s[20:21]
	v_fma_f64 v[50:51], v[58:59], s[30:31], v[90:91]
	v_add_f64 v[2:3], v[68:69], v[2:3]
	v_fma_f64 v[48:49], v[56:57], s[26:27], -v[86:87]
	v_add_f64 v[0:1], v[62:63], v[0:1]
	v_add_f64 v[121:122], v[94:95], v[121:122]
	;; [unrolled: 1-line block ×3, first 2 shown]
	v_fma_f64 v[113:114], v[56:57], s[26:27], v[86:87]
	v_add_f64 v[80:81], v[135:136], v[123:124]
	v_fma_f64 v[70:71], v[52:53], s[22:23], v[82:83]
	v_mul_f64 v[56:57], v[60:61], s[0:1]
	v_add_f64 v[30:31], v[30:31], v[38:39]
	v_add_f64 v[26:27], v[26:27], v[34:35]
	;; [unrolled: 1-line block ×3, first 2 shown]
	v_mul_f64 v[58:59], v[72:73], s[14:15]
	v_fma_f64 v[42:43], v[52:53], s[20:21], v[82:83]
	v_add_f64 v[2:3], v[50:51], v[2:3]
	v_fma_f64 v[38:39], v[40:41], s[18:19], -v[76:77]
	v_add_f64 v[0:1], v[48:49], v[0:1]
	v_fma_f64 v[119:120], v[40:41], s[26:27], -v[119:120]
	v_fma_f64 v[66:67], v[40:41], s[18:19], v[76:77]
	v_add_f64 v[64:65], v[70:71], v[80:81]
	v_fma_f64 v[40:41], v[36:37], s[6:7], v[56:57]
	v_add_f64 v[30:31], v[24:25], v[30:31]
	v_add_f64 v[32:33], v[32:33], v[26:27]
	v_add_f64 v[84:85], v[113:114], v[88:89]
	v_fma_f64 v[88:89], v[36:37], s[16:17], v[141:142]
	v_fma_f64 v[34:35], v[36:37], s[14:15], v[56:57]
	v_add_f64 v[36:37], v[42:43], v[2:3]
	v_fma_f64 v[42:43], v[54:55], s[0:1], -v[58:59]
	v_add_f64 v[38:39], v[38:39], v[0:1]
	v_add_f64 v[26:27], v[40:41], v[64:65]
	;; [unrolled: 1-line block ×5, first 2 shown]
	v_fma_f64 v[48:49], v[54:55], s[0:1], v[58:59]
	v_add_f64 v[30:31], v[34:35], v[36:37]
	v_mad_u64_u32 v[32:33], s[0:1], s2, v100, 0
	v_add_f64 v[28:29], v[42:43], v[38:39]
	v_mul_lo_u32 v42, s5, v46
	v_mul_lo_u32 v43, s4, v47
	v_mad_u64_u32 v[36:37], s[0:1], s4, v46, 0
	v_add_f64 v[34:35], v[20:21], v[40:41]
	v_mov_b32_e32 v20, v33
	v_add3_u32 v37, v37, v43, v42
	v_mad_u64_u32 v[38:39], s[0:1], s3, v100, v[20:21]
	v_add_f64 v[20:21], v[16:17], v[22:23]
	v_lshlrev_b64 v[16:17], 4, v[36:37]
	v_mov_b32_e32 v22, s11
	v_add_co_u32_e32 v23, vcc, s10, v16
	v_add_f64 v[24:25], v[48:49], v[66:67]
	v_addc_co_u32_e32 v22, vcc, v22, v17, vcc
	v_lshlrev_b64 v[16:17], 4, v[44:45]
	v_add_f64 v[18:19], v[18:19], v[34:35]
	v_mov_b32_e32 v33, v38
	v_add_co_u32_e32 v35, vcc, v23, v16
	v_add_f64 v[115:116], v[131:132], v[115:116]
	v_fma_f64 v[131:132], v[52:53], s[34:35], v[139:140]
	v_addc_co_u32_e32 v36, vcc, v22, v17, vcc
	v_lshlrev_b64 v[16:17], 4, v[32:33]
	v_add_u32_e32 v32, 5, v100
	v_mad_u64_u32 v[22:23], s[0:1], s2, v32, 0
	v_add_u32_e32 v37, 10, v100
	v_add_f64 v[115:116], v[131:132], v[115:116]
	v_mad_u64_u32 v[32:33], s[0:1], s3, v32, v[23:24]
	v_mad_u64_u32 v[33:34], s[0:1], s2, v37, 0
	v_add_f64 v[119:120], v[119:120], v[121:122]
	v_fma_f64 v[98:99], v[54:55], s[8:9], -v[117:118]
	v_add_co_u32_e32 v16, vcc, v35, v16
	v_addc_co_u32_e32 v17, vcc, v36, v17, vcc
	global_store_dwordx4 v[16:17], v[18:21], off
	v_mov_b32_e32 v23, v32
	v_mov_b32_e32 v18, v34
	v_mad_u64_u32 v[18:19], s[0:1], s3, v37, v[18:19]
	v_add_u32_e32 v20, 15, v100
	v_add_f64 v[2:3], v[88:89], v[115:116]
	v_mov_b32_e32 v34, v18
	v_mad_u64_u32 v[18:19], s[0:1], s2, v20, 0
	v_add_f64 v[0:1], v[98:99], v[119:120]
	v_lshlrev_b64 v[16:17], 4, v[22:23]
	v_mad_u64_u32 v[19:20], s[0:1], s3, v20, v[19:20]
	v_add_co_u32_e32 v16, vcc, v35, v16
	v_addc_co_u32_e32 v17, vcc, v36, v17, vcc
	v_add_u32_e32 v22, 20, v100
	global_store_dwordx4 v[16:17], v[28:31], off
	v_lshlrev_b64 v[16:17], 4, v[33:34]
	v_mad_u64_u32 v[20:21], s[0:1], s2, v22, 0
	v_add_co_u32_e32 v16, vcc, v35, v16
	v_addc_co_u32_e32 v17, vcc, v36, v17, vcc
	global_store_dwordx4 v[16:17], v[0:3], off
	v_add_u32_e32 v16, 25, v100
	v_mov_b32_e32 v2, v21
	v_mad_u64_u32 v[2:3], s[0:1], s3, v22, v[2:3]
	v_lshlrev_b64 v[0:1], 4, v[18:19]
	v_add_u32_e32 v19, 30, v100
	v_mov_b32_e32 v21, v2
	v_mad_u64_u32 v[2:3], s[0:1], s2, v16, 0
	v_add_co_u32_e32 v0, vcc, v35, v0
	v_addc_co_u32_e32 v1, vcc, v36, v1, vcc
	v_mad_u64_u32 v[16:17], s[0:1], s3, v16, v[3:4]
	global_store_dwordx4 v[0:1], v[109:112], off
	v_lshlrev_b64 v[0:1], 4, v[20:21]
	v_mad_u64_u32 v[17:18], s[0:1], s2, v19, 0
	v_add_co_u32_e32 v0, vcc, v35, v0
	v_addc_co_u32_e32 v1, vcc, v36, v1, vcc
	v_mov_b32_e32 v3, v16
	global_store_dwordx4 v[0:1], v[101:104], off
	v_lshlrev_b64 v[0:1], 4, v[2:3]
	v_mov_b32_e32 v2, v18
	v_mad_u64_u32 v[2:3], s[0:1], s3, v19, v[2:3]
	v_add_co_u32_e32 v0, vcc, v35, v0
	v_addc_co_u32_e32 v1, vcc, v36, v1, vcc
	global_store_dwordx4 v[0:1], v[8:11], off
	v_mov_b32_e32 v18, v2
	v_add_u32_e32 v8, 35, v100
	v_mad_u64_u32 v[2:3], s[0:1], s2, v8, 0
	v_or_b32_e32 v11, 40, v100
	v_lshlrev_b64 v[0:1], 4, v[17:18]
	v_mad_u64_u32 v[8:9], s[0:1], s3, v8, v[3:4]
	v_mad_u64_u32 v[9:10], s[0:1], s2, v11, 0
	v_add_co_u32_e32 v0, vcc, v35, v0
	v_addc_co_u32_e32 v1, vcc, v36, v1, vcc
	v_mov_b32_e32 v3, v8
	global_store_dwordx4 v[0:1], v[4:7], off
	v_lshlrev_b64 v[0:1], 4, v[2:3]
	v_mov_b32_e32 v2, v10
	v_mad_u64_u32 v[2:3], s[0:1], s3, v11, v[2:3]
	v_add_u32_e32 v4, 45, v100
	v_add_co_u32_e32 v0, vcc, v35, v0
	v_mov_b32_e32 v10, v2
	v_mad_u64_u32 v[2:3], s[0:1], s2, v4, 0
	v_addc_co_u32_e32 v1, vcc, v36, v1, vcc
	v_mad_u64_u32 v[3:4], s[0:1], s3, v4, v[3:4]
	v_add_u32_e32 v6, 50, v100
	global_store_dwordx4 v[0:1], v[12:15], off
	v_lshlrev_b64 v[0:1], 4, v[9:10]
	v_mad_u64_u32 v[4:5], s[0:1], s2, v6, 0
	v_add_co_u32_e32 v0, vcc, v35, v0
	v_addc_co_u32_e32 v1, vcc, v36, v1, vcc
	global_store_dwordx4 v[0:1], v[105:108], off
	v_lshlrev_b64 v[0:1], 4, v[2:3]
	v_mov_b32_e32 v2, v5
	v_mad_u64_u32 v[2:3], s[0:1], s3, v6, v[2:3]
	v_add_co_u32_e32 v0, vcc, v35, v0
	v_addc_co_u32_e32 v1, vcc, v36, v1, vcc
	v_mov_b32_e32 v5, v2
	global_store_dwordx4 v[0:1], v[94:97], off
	v_lshlrev_b64 v[0:1], 4, v[4:5]
	v_add_co_u32_e32 v0, vcc, v35, v0
	v_addc_co_u32_e32 v1, vcc, v36, v1, vcc
	global_store_dwordx4 v[0:1], v[24:27], off
.LBB0_16:
	s_endpgm
	.section	.rodata,"a",@progbits
	.p2align	6, 0x0
	.amdhsa_kernel fft_rtc_fwd_len55_factors_5_11_wgs_253_tpt_11_dp_op_CI_CI_sbrr_dirReg
		.amdhsa_group_segment_fixed_size 0
		.amdhsa_private_segment_fixed_size 0
		.amdhsa_kernarg_size 104
		.amdhsa_user_sgpr_count 6
		.amdhsa_user_sgpr_private_segment_buffer 1
		.amdhsa_user_sgpr_dispatch_ptr 0
		.amdhsa_user_sgpr_queue_ptr 0
		.amdhsa_user_sgpr_kernarg_segment_ptr 1
		.amdhsa_user_sgpr_dispatch_id 0
		.amdhsa_user_sgpr_flat_scratch_init 0
		.amdhsa_user_sgpr_private_segment_size 0
		.amdhsa_uses_dynamic_stack 0
		.amdhsa_system_sgpr_private_segment_wavefront_offset 0
		.amdhsa_system_sgpr_workgroup_id_x 1
		.amdhsa_system_sgpr_workgroup_id_y 0
		.amdhsa_system_sgpr_workgroup_id_z 0
		.amdhsa_system_sgpr_workgroup_info 0
		.amdhsa_system_vgpr_workitem_id 0
		.amdhsa_next_free_vgpr 143
		.amdhsa_next_free_sgpr 38
		.amdhsa_reserve_vcc 1
		.amdhsa_reserve_flat_scratch 0
		.amdhsa_float_round_mode_32 0
		.amdhsa_float_round_mode_16_64 0
		.amdhsa_float_denorm_mode_32 3
		.amdhsa_float_denorm_mode_16_64 3
		.amdhsa_dx10_clamp 1
		.amdhsa_ieee_mode 1
		.amdhsa_fp16_overflow 0
		.amdhsa_exception_fp_ieee_invalid_op 0
		.amdhsa_exception_fp_denorm_src 0
		.amdhsa_exception_fp_ieee_div_zero 0
		.amdhsa_exception_fp_ieee_overflow 0
		.amdhsa_exception_fp_ieee_underflow 0
		.amdhsa_exception_fp_ieee_inexact 0
		.amdhsa_exception_int_div_zero 0
	.end_amdhsa_kernel
	.text
.Lfunc_end0:
	.size	fft_rtc_fwd_len55_factors_5_11_wgs_253_tpt_11_dp_op_CI_CI_sbrr_dirReg, .Lfunc_end0-fft_rtc_fwd_len55_factors_5_11_wgs_253_tpt_11_dp_op_CI_CI_sbrr_dirReg
                                        ; -- End function
	.section	.AMDGPU.csdata,"",@progbits
; Kernel info:
; codeLenInByte = 6040
; NumSgprs: 42
; NumVgprs: 143
; ScratchSize: 0
; MemoryBound: 1
; FloatMode: 240
; IeeeMode: 1
; LDSByteSize: 0 bytes/workgroup (compile time only)
; SGPRBlocks: 5
; VGPRBlocks: 35
; NumSGPRsForWavesPerEU: 42
; NumVGPRsForWavesPerEU: 143
; Occupancy: 1
; WaveLimiterHint : 1
; COMPUTE_PGM_RSRC2:SCRATCH_EN: 0
; COMPUTE_PGM_RSRC2:USER_SGPR: 6
; COMPUTE_PGM_RSRC2:TRAP_HANDLER: 0
; COMPUTE_PGM_RSRC2:TGID_X_EN: 1
; COMPUTE_PGM_RSRC2:TGID_Y_EN: 0
; COMPUTE_PGM_RSRC2:TGID_Z_EN: 0
; COMPUTE_PGM_RSRC2:TIDIG_COMP_CNT: 0
	.type	__hip_cuid_7b15ce314256203d,@object ; @__hip_cuid_7b15ce314256203d
	.section	.bss,"aw",@nobits
	.globl	__hip_cuid_7b15ce314256203d
__hip_cuid_7b15ce314256203d:
	.byte	0                               ; 0x0
	.size	__hip_cuid_7b15ce314256203d, 1

	.ident	"AMD clang version 19.0.0git (https://github.com/RadeonOpenCompute/llvm-project roc-6.4.0 25133 c7fe45cf4b819c5991fe208aaa96edf142730f1d)"
	.section	".note.GNU-stack","",@progbits
	.addrsig
	.addrsig_sym __hip_cuid_7b15ce314256203d
	.amdgpu_metadata
---
amdhsa.kernels:
  - .args:
      - .actual_access:  read_only
        .address_space:  global
        .offset:         0
        .size:           8
        .value_kind:     global_buffer
      - .offset:         8
        .size:           8
        .value_kind:     by_value
      - .actual_access:  read_only
        .address_space:  global
        .offset:         16
        .size:           8
        .value_kind:     global_buffer
      - .actual_access:  read_only
        .address_space:  global
        .offset:         24
        .size:           8
        .value_kind:     global_buffer
      - .actual_access:  read_only
        .address_space:  global
        .offset:         32
        .size:           8
        .value_kind:     global_buffer
      - .offset:         40
        .size:           8
        .value_kind:     by_value
      - .actual_access:  read_only
        .address_space:  global
        .offset:         48
        .size:           8
        .value_kind:     global_buffer
      - .actual_access:  read_only
        .address_space:  global
        .offset:         56
        .size:           8
        .value_kind:     global_buffer
      - .offset:         64
        .size:           4
        .value_kind:     by_value
      - .actual_access:  read_only
        .address_space:  global
        .offset:         72
        .size:           8
        .value_kind:     global_buffer
      - .actual_access:  read_only
        .address_space:  global
        .offset:         80
        .size:           8
        .value_kind:     global_buffer
      - .actual_access:  read_only
        .address_space:  global
        .offset:         88
        .size:           8
        .value_kind:     global_buffer
      - .actual_access:  write_only
        .address_space:  global
        .offset:         96
        .size:           8
        .value_kind:     global_buffer
    .group_segment_fixed_size: 0
    .kernarg_segment_align: 8
    .kernarg_segment_size: 104
    .language:       OpenCL C
    .language_version:
      - 2
      - 0
    .max_flat_workgroup_size: 253
    .name:           fft_rtc_fwd_len55_factors_5_11_wgs_253_tpt_11_dp_op_CI_CI_sbrr_dirReg
    .private_segment_fixed_size: 0
    .sgpr_count:     42
    .sgpr_spill_count: 0
    .symbol:         fft_rtc_fwd_len55_factors_5_11_wgs_253_tpt_11_dp_op_CI_CI_sbrr_dirReg.kd
    .uniform_work_group_size: 1
    .uses_dynamic_stack: false
    .vgpr_count:     143
    .vgpr_spill_count: 0
    .wavefront_size: 64
amdhsa.target:   amdgcn-amd-amdhsa--gfx906
amdhsa.version:
  - 1
  - 2
...

	.end_amdgpu_metadata
